;; amdgpu-corpus repo=FlagOpen/FlagGems kind=triton arch=gfx950 opt=O3 lang=triton
	.amdgcn_target "amdgcn-amd-amdhsa--gfx950"
	.amdhsa_code_object_version 5
	.text
	.globl	sum_dim_kernel                  ; -- Begin function sum_dim_kernel
	.p2align	8
	.type	sum_dim_kernel,@function
sum_dim_kernel:                         ; @sum_dim_kernel
.Lfunc_begin0:
	.cfi_sections .debug_frame
	.cfi_startproc
; %bb.45:
	.file	1 "/root/src/amdgpu-assembly/repos/FlagOpen__FlagGems/triton_aot_kernels" "sum_aot.py"
	.loc	1 32 0 prologue_end             ; sum_aot.py:32:0
	s_load_dwordx2 s[2:3], s[0:1], 0x0
	s_load_dwordx8 s[4:11], s[0:1], 0x8
	s_waitcnt lgkmcnt(0)
	s_branch .LBB0_0
	.loc	1 0 0 is_stmt 0                 ; :0:0
.Ltmp0:
	.p2align	8
; %bb.46:
.LBB0_0:
.Ltmp1:
	.loc	1 62 23 is_stmt 1               ; sum_aot.py:62:23
	v_readfirstlane_b32 s31, v0
	s_mov_b32 s10, s7
	.loc	1 48 29                         ; sum_aot.py:48:29
	s_lshl_b32 s30, s12, 2
	.loc	1 48 61 is_stmt 0               ; sum_aot.py:48:61
	s_and_b32 s7, s31, 0xc0
	v_and_b32_e32 v1, 63, v0
	.loc	1 54 27 is_stmt 1               ; sum_aot.py:54:27
	s_cmp_lt_i32 s10, 1
	v_mov_b32_e32 v11, 0
	v_mov_b32_e32 v10, 0
	;; [unrolled: 1-line block ×4, first 2 shown]
	s_cbranch_scc1 .LBB0_36
; %bb.1:                                ; %.lr.ph.preheader
	.loc	1 49 22                         ; sum_aot.py:49:22
	s_mul_i32 s0, s10, s30
	s_mul_i32 s1, s10, 3
	s_add_i32 s18, s0, s1
	.loc	1 49 16 is_stmt 0               ; sum_aot.py:49:16
	s_ashr_i32 s1, s0, 31
	.loc	1 48 39 is_stmt 1               ; sum_aot.py:48:39
	s_or_b32 s22, s30, 1
	s_or_b32 s24, s30, 2
	;; [unrolled: 1-line block ×3, first 2 shown]
	.loc	1 49 22                         ; sum_aot.py:49:22
	s_lshl1_add_u32 s8, s10, s0
	.loc	1 49 16 is_stmt 0               ; sum_aot.py:49:16
	s_lshl_b64 s[0:1], s[0:1], 2
	s_add_u32 s12, s2, s0
	s_addc_u32 s13, s3, s1
	s_ashr_i32 s11, s10, 31
	s_lshl_b64 s[0:1], s[10:11], 2
	s_add_u32 s14, s12, s0
	s_addc_u32 s15, s13, s1
	s_ashr_i32 s9, s8, 31
	;; [unrolled: 4-line block ×3, first 2 shown]
	s_lshl_b64 s[0:1], s[18:19], 2
	s_add_u32 s18, s2, s0
	s_addc_u32 s19, s3, s1
	.loc	1 51 21 is_stmt 1               ; sum_aot.py:51:21
	s_cmp_lt_i32 s30, s6
	s_cselect_b64 s[20:21], -1, 0
	s_cmp_lt_i32 s22, s6
	s_cselect_b64 s[22:23], -1, 0
	;; [unrolled: 2-line block ×3, first 2 shown]
	s_cmp_lt_i32 s26, s6
	v_mov_b32_e32 v2, 0
	s_cselect_b64 s[26:27], -1, 0
	.loc	1 59 32                         ; sum_aot.py:59:32
	v_add_u32_e32 v38, s7, v1
	s_mov_b32 s11, 0
	v_mov_b32_e32 v3, v2
	v_mov_b32_e32 v4, v2
	v_mov_b32_e32 v5, v2
	v_mov_b32_e32 v6, v2
	v_mov_b32_e32 v7, v2
	v_mov_b32_e32 v8, v2
	v_mov_b32_e32 v9, v2
	v_mov_b32_e32 v10, v2
	v_mov_b32_e32 v11, v2
	v_mov_b32_e32 v12, v2
	v_mov_b32_e32 v13, v2
	v_mov_b32_e32 v14, v2
	v_mov_b32_e32 v15, v2
	v_mov_b32_e32 v16, v2
	v_mov_b32_e32 v17, v2
	s_branch .LBB0_3
.LBB0_2:                                ;   in Loop: Header=BB0_3 Depth=1
	.loc	1 0 32 is_stmt 0                ; sum_aot.py:0:32
	s_or_b64 exec, exec, s[0:1]
	.loc	1 54 27 is_stmt 1               ; sum_aot.py:54:27
	s_addk_i32 s11, 0x400
	.loc	1 60 16                         ; sum_aot.py:60:16
	s_waitcnt vmcnt(0)
	v_pk_add_f32 v[12:13], v[12:13], v[18:19]
	v_pk_add_f32 v[10:11], v[10:11], v[22:23]
	;; [unrolled: 1-line block ×7, first 2 shown]
	.loc	1 54 27                         ; sum_aot.py:54:27
	s_cmp_lt_i32 s11, s10
	.loc	1 60 16                         ; sum_aot.py:60:16
	v_pk_add_f32 v[8:9], v[8:9], v[34:35]
	.loc	1 54 27                         ; sum_aot.py:54:27
	s_cbranch_scc0 .LBB0_35
.LBB0_3:                                ; %.lr.ph
                                        ; =>This Inner Loop Header: Depth=1
	.loc	1 55 21                         ; sum_aot.py:55:21
	v_add_u32_e32 v26, s11, v38
	.loc	1 56 26                         ; sum_aot.py:56:26
	v_cmp_gt_i32_e32 vcc, s10, v26
	.loc	1 59 26                         ; sum_aot.py:59:26
	v_ashrrev_i32_e32 v27, 31, v26
	.loc	1 57 28                         ; sum_aot.py:57:28
	s_and_b64 s[2:3], s[20:21], vcc
	.loc	1 59 26                         ; sum_aot.py:59:26
	v_lshl_add_u64 v[28:29], v[26:27], 2, s[12:13]
	v_mov_b32_e32 v18, 0
	.loc	1 59 32 is_stmt 0               ; sum_aot.py:59:32
	s_and_saveexec_b64 s[0:1], s[2:3]
	s_cbranch_execz .LBB0_5
; %bb.4:                                ;   in Loop: Header=BB0_3 Depth=1
	global_load_dword v18, v[28:29], off
.LBB0_5:                                ;   in Loop: Header=BB0_3 Depth=1
	.loc	1 0 32                          ; sum_aot.py:0:32
	s_or_b64 exec, exec, s[0:1]
	.loc	1 55 21 is_stmt 1               ; sum_aot.py:55:21
	v_add_u32_e32 v19, 0x100, v26
	.loc	1 56 26                         ; sum_aot.py:56:26
	v_cmp_gt_i32_e64 s[0:1], s10, v19
	.loc	1 57 28                         ; sum_aot.py:57:28
	s_and_b64 s[8:9], s[20:21], s[0:1]
	v_mov_b32_e32 v20, 0
	v_mov_b32_e32 v22, 0
	.loc	1 59 32                         ; sum_aot.py:59:32
	s_and_saveexec_b64 s[2:3], s[8:9]
	s_cbranch_execz .LBB0_7
; %bb.6:                                ;   in Loop: Header=BB0_3 Depth=1
	global_load_dword v22, v[28:29], off offset:1024
.LBB0_7:                                ;   in Loop: Header=BB0_3 Depth=1
	.loc	1 0 32 is_stmt 0                ; sum_aot.py:0:32
	s_or_b64 exec, exec, s[2:3]
	.loc	1 55 21 is_stmt 1               ; sum_aot.py:55:21
	v_add_u32_e32 v19, 0x200, v26
	.loc	1 56 26                         ; sum_aot.py:56:26
	v_cmp_gt_i32_e64 s[2:3], s10, v19
	.loc	1 57 28                         ; sum_aot.py:57:28
	s_and_b64 s[28:29], s[20:21], s[2:3]
	.loc	1 59 32                         ; sum_aot.py:59:32
	s_and_saveexec_b64 s[8:9], s[28:29]
	s_cbranch_execz .LBB0_9
; %bb.8:                                ;   in Loop: Header=BB0_3 Depth=1
	global_load_dword v20, v[28:29], off offset:2048
.LBB0_9:                                ;   in Loop: Header=BB0_3 Depth=1
	.loc	1 0 32 is_stmt 0                ; sum_aot.py:0:32
	s_or_b64 exec, exec, s[8:9]
	.loc	1 56 26 is_stmt 1               ; sum_aot.py:56:26
	v_add_u32_e32 v19, 0x300, v26
	v_cmp_gt_i32_e64 s[8:9], s10, v19
	.loc	1 57 28                         ; sum_aot.py:57:28
	s_and_b64 s[34:35], s[20:21], s[8:9]
	v_mov_b32_e32 v19, 0
	v_mov_b32_e32 v24, 0
	.loc	1 59 32                         ; sum_aot.py:59:32
	s_and_saveexec_b64 s[28:29], s[34:35]
	s_cbranch_execz .LBB0_11
; %bb.10:                               ;   in Loop: Header=BB0_3 Depth=1
	global_load_dword v24, v[28:29], off offset:3072
.LBB0_11:                               ;   in Loop: Header=BB0_3 Depth=1
	.loc	1 0 32 is_stmt 0                ; sum_aot.py:0:32
	s_or_b64 exec, exec, s[28:29]
	.loc	1 57 28 is_stmt 1               ; sum_aot.py:57:28
	s_and_b64 s[34:35], s[22:23], vcc
	.loc	1 59 26                         ; sum_aot.py:59:26
	v_lshl_add_u64 v[30:31], v[26:27], 2, s[14:15]
	.loc	1 59 32 is_stmt 0               ; sum_aot.py:59:32
	s_and_saveexec_b64 s[28:29], s[34:35]
	s_cbranch_execz .LBB0_13
; %bb.12:                               ;   in Loop: Header=BB0_3 Depth=1
	global_load_dword v19, v[30:31], off
.LBB0_13:                               ;   in Loop: Header=BB0_3 Depth=1
	.loc	1 0 32                          ; sum_aot.py:0:32
	s_or_b64 exec, exec, s[28:29]
	.loc	1 57 28 is_stmt 1               ; sum_aot.py:57:28
	s_and_b64 s[34:35], s[22:23], s[0:1]
	v_mov_b32_e32 v21, 0
	v_mov_b32_e32 v23, 0
	.loc	1 59 32                         ; sum_aot.py:59:32
	s_and_saveexec_b64 s[28:29], s[34:35]
	s_cbranch_execz .LBB0_15
; %bb.14:                               ;   in Loop: Header=BB0_3 Depth=1
	global_load_dword v23, v[30:31], off offset:1024
.LBB0_15:                               ;   in Loop: Header=BB0_3 Depth=1
	.loc	1 0 32 is_stmt 0                ; sum_aot.py:0:32
	s_or_b64 exec, exec, s[28:29]
	.loc	1 57 28 is_stmt 1               ; sum_aot.py:57:28
	s_and_b64 s[34:35], s[22:23], s[2:3]
	.loc	1 59 32                         ; sum_aot.py:59:32
	s_and_saveexec_b64 s[28:29], s[34:35]
	s_cbranch_execz .LBB0_17
; %bb.16:                               ;   in Loop: Header=BB0_3 Depth=1
	global_load_dword v21, v[30:31], off offset:2048
.LBB0_17:                               ;   in Loop: Header=BB0_3 Depth=1
	.loc	1 0 32 is_stmt 0                ; sum_aot.py:0:32
	s_or_b64 exec, exec, s[28:29]
	.loc	1 57 28 is_stmt 1               ; sum_aot.py:57:28
	s_and_b64 s[34:35], s[22:23], s[8:9]
	v_mov_b32_e32 v28, 0
	v_mov_b32_e32 v25, 0
	.loc	1 59 32                         ; sum_aot.py:59:32
	s_and_saveexec_b64 s[28:29], s[34:35]
	s_cbranch_execz .LBB0_19
; %bb.18:                               ;   in Loop: Header=BB0_3 Depth=1
	global_load_dword v25, v[30:31], off offset:3072
.LBB0_19:                               ;   in Loop: Header=BB0_3 Depth=1
	.loc	1 0 32 is_stmt 0                ; sum_aot.py:0:32
	s_or_b64 exec, exec, s[28:29]
	.loc	1 57 28 is_stmt 1               ; sum_aot.py:57:28
	s_and_b64 s[34:35], s[24:25], vcc
	.loc	1 59 26                         ; sum_aot.py:59:26
	v_lshl_add_u64 v[36:37], v[26:27], 2, s[16:17]
	.loc	1 59 32 is_stmt 0               ; sum_aot.py:59:32
	s_and_saveexec_b64 s[28:29], s[34:35]
	s_cbranch_execz .LBB0_21
; %bb.20:                               ;   in Loop: Header=BB0_3 Depth=1
	global_load_dword v28, v[36:37], off
.LBB0_21:                               ;   in Loop: Header=BB0_3 Depth=1
	.loc	1 0 32                          ; sum_aot.py:0:32
	s_or_b64 exec, exec, s[28:29]
	.loc	1 57 28 is_stmt 1               ; sum_aot.py:57:28
	s_and_b64 s[34:35], s[24:25], s[0:1]
	v_mov_b32_e32 v30, 0
	v_mov_b32_e32 v32, 0
	.loc	1 59 32                         ; sum_aot.py:59:32
	s_and_saveexec_b64 s[28:29], s[34:35]
	s_cbranch_execz .LBB0_23
; %bb.22:                               ;   in Loop: Header=BB0_3 Depth=1
	global_load_dword v32, v[36:37], off offset:1024
.LBB0_23:                               ;   in Loop: Header=BB0_3 Depth=1
	.loc	1 0 32 is_stmt 0                ; sum_aot.py:0:32
	s_or_b64 exec, exec, s[28:29]
	.loc	1 57 28 is_stmt 1               ; sum_aot.py:57:28
	s_and_b64 s[34:35], s[24:25], s[2:3]
	.loc	1 59 32                         ; sum_aot.py:59:32
	s_and_saveexec_b64 s[28:29], s[34:35]
	s_cbranch_execz .LBB0_25
; %bb.24:                               ;   in Loop: Header=BB0_3 Depth=1
	global_load_dword v30, v[36:37], off offset:2048
.LBB0_25:                               ;   in Loop: Header=BB0_3 Depth=1
	.loc	1 0 32 is_stmt 0                ; sum_aot.py:0:32
	s_or_b64 exec, exec, s[28:29]
	.loc	1 57 28 is_stmt 1               ; sum_aot.py:57:28
	s_and_b64 s[34:35], s[24:25], s[8:9]
	v_mov_b32_e32 v29, 0
	v_mov_b32_e32 v34, 0
	.loc	1 59 32                         ; sum_aot.py:59:32
	s_and_saveexec_b64 s[28:29], s[34:35]
	s_cbranch_execz .LBB0_27
; %bb.26:                               ;   in Loop: Header=BB0_3 Depth=1
	global_load_dword v34, v[36:37], off offset:3072
.LBB0_27:                               ;   in Loop: Header=BB0_3 Depth=1
	.loc	1 0 32 is_stmt 0                ; sum_aot.py:0:32
	s_or_b64 exec, exec, s[28:29]
	.loc	1 57 28 is_stmt 1               ; sum_aot.py:57:28
	s_and_b64 s[34:35], s[26:27], vcc
	.loc	1 59 26                         ; sum_aot.py:59:26
	v_lshl_add_u64 v[26:27], v[26:27], 2, s[18:19]
	.loc	1 59 32 is_stmt 0               ; sum_aot.py:59:32
	s_and_saveexec_b64 s[28:29], s[34:35]
	s_cbranch_execz .LBB0_29
; %bb.28:                               ;   in Loop: Header=BB0_3 Depth=1
	global_load_dword v29, v[26:27], off
.LBB0_29:                               ;   in Loop: Header=BB0_3 Depth=1
	.loc	1 0 32                          ; sum_aot.py:0:32
	s_or_b64 exec, exec, s[28:29]
	.loc	1 57 28 is_stmt 1               ; sum_aot.py:57:28
	s_and_b64 s[28:29], s[26:27], s[0:1]
	v_mov_b32_e32 v31, 0
	v_mov_b32_e32 v33, 0
	.loc	1 59 32                         ; sum_aot.py:59:32
	s_and_saveexec_b64 s[0:1], s[28:29]
	s_cbranch_execz .LBB0_31
; %bb.30:                               ;   in Loop: Header=BB0_3 Depth=1
	global_load_dword v33, v[26:27], off offset:1024
.LBB0_31:                               ;   in Loop: Header=BB0_3 Depth=1
	.loc	1 0 32 is_stmt 0                ; sum_aot.py:0:32
	s_or_b64 exec, exec, s[0:1]
	.loc	1 57 28 is_stmt 1               ; sum_aot.py:57:28
	s_and_b64 s[2:3], s[26:27], s[2:3]
	.loc	1 59 32                         ; sum_aot.py:59:32
	s_and_saveexec_b64 s[0:1], s[2:3]
	s_cbranch_execz .LBB0_33
; %bb.32:                               ;   in Loop: Header=BB0_3 Depth=1
	global_load_dword v31, v[26:27], off offset:2048
.LBB0_33:                               ;   in Loop: Header=BB0_3 Depth=1
	.loc	1 0 32 is_stmt 0                ; sum_aot.py:0:32
	s_or_b64 exec, exec, s[0:1]
	.loc	1 57 28 is_stmt 1               ; sum_aot.py:57:28
	s_and_b64 s[2:3], s[26:27], s[8:9]
	v_mov_b32_e32 v35, 0
	.loc	1 59 32                         ; sum_aot.py:59:32
	s_and_saveexec_b64 s[0:1], s[2:3]
	s_cbranch_execz .LBB0_2
; %bb.34:                               ;   in Loop: Header=BB0_3 Depth=1
	global_load_dword v35, v[26:27], off offset:3072
	s_branch .LBB0_2
.LBB0_35:                               ; %._crit_edge.loopexit
.Ltmp2:
	.file	2 "/root/.local/lib/python3.13/site-packages/triton/language" "standard.py"
	.loc	2 263 15                        ; standard.py:263:15 @[ standard.py:293:36 @[ sum_aot.py:61:17 ] ]
	v_pk_add_f32 v[10:11], v[12:13], v[10:11]
	v_pk_add_f32 v[2:3], v[4:5], v[2:3]
	;; [unrolled: 1-line block ×6, first 2 shown]
.LBB0_36:                               ; %._crit_edge
	.loc	2 263 15                        ; standard.py:263:15 @[ standard.py:293:36 @[ sum_aot.py:61:17 ] ]
	s_nop 0
	v_add_f32_dpp v4, v10, v10 row_shr:8 row_mask:0xf bank_mask:0xf bound_ctrl:1
	v_add_f32_dpp v2, v2, v2 row_shr:8 row_mask:0xf bank_mask:0xf bound_ctrl:1
.Ltmp3:
	.loc	2 293 36                        ; standard.py:293:36 @[ sum_aot.py:61:17 ]
	v_cmp_eq_u32_e32 vcc, 0, v1
.Ltmp4:
	.loc	2 263 15                        ; standard.py:263:15 @[ standard.py:293:36 @[ sum_aot.py:61:17 ] ]
	v_add_f32_dpp v4, v4, v4 row_shr:4 row_mask:0xf bank_mask:0xf bound_ctrl:1
	v_add_f32_dpp v2, v2, v2 row_shr:4 row_mask:0xf bank_mask:0xf bound_ctrl:1
	s_nop 0
	v_add_f32_dpp v4, v4, v4 row_shr:2 row_mask:0xf bank_mask:0xf bound_ctrl:1
	v_add_f32_dpp v2, v2, v2 row_shr:2 row_mask:0xf bank_mask:0xf bound_ctrl:1
	s_nop 0
	v_add_f32_dpp v4, v4, v4 row_shr:1 row_mask:0xf bank_mask:0xf bound_ctrl:1
.Ltmp5:
	.loc	2 293 36                        ; standard.py:293:36 @[ sum_aot.py:61:17 ]
	v_mov_b32_e32 v5, v4
.Ltmp6:
	.loc	2 263 15                        ; standard.py:263:15 @[ standard.py:293:36 @[ sum_aot.py:61:17 ] ]
	v_add_f32_dpp v2, v2, v2 row_shr:1 row_mask:0xf bank_mask:0xf bound_ctrl:1
.Ltmp7:
	.loc	2 293 36                        ; standard.py:293:36 @[ sum_aot.py:61:17 ]
	s_nop 0
	v_mov_b32_dpp v5, v5 row_bcast:15 row_mask:0xa bank_mask:0xf bound_ctrl:1
.Ltmp8:
	.loc	2 263 15                        ; standard.py:263:15 @[ standard.py:293:36 @[ sum_aot.py:61:17 ] ]
	v_add_f32_e32 v4, v4, v5
	s_nop 1
	v_add_f32_dpp v4, v4, v4 row_bcast:31 row_mask:0xf bank_mask:0xf bound_ctrl:1
.Ltmp9:
	.loc	2 293 36                        ; standard.py:293:36 @[ sum_aot.py:61:17 ]
	s_nop 0
	v_readlane_b32 s2, v4, 63
.Ltmp10:
	.loc	2 263 15                        ; standard.py:263:15 @[ standard.py:293:36 @[ sum_aot.py:61:17 ] ]
	v_add_f32_dpp v4, v11, v11 row_shr:8 row_mask:0xf bank_mask:0xf bound_ctrl:1
	s_nop 1
	v_add_f32_dpp v4, v4, v4 row_shr:4 row_mask:0xf bank_mask:0xf bound_ctrl:1
	s_nop 1
	;; [unrolled: 2-line block ×3, first 2 shown]
	v_add_f32_dpp v4, v4, v4 row_shr:1 row_mask:0xf bank_mask:0xf bound_ctrl:1
.Ltmp11:
	.loc	2 293 36                        ; standard.py:293:36 @[ sum_aot.py:61:17 ]
	v_mov_b32_e32 v5, v4
	s_nop 1
	v_mov_b32_dpp v5, v5 row_bcast:15 row_mask:0xa bank_mask:0xf bound_ctrl:1
.Ltmp12:
	.loc	2 263 15                        ; standard.py:263:15 @[ standard.py:293:36 @[ sum_aot.py:61:17 ] ]
	v_add_f32_e32 v4, v4, v5
	s_nop 1
	v_add_f32_dpp v4, v4, v4 row_bcast:31 row_mask:0xf bank_mask:0xf bound_ctrl:1
.Ltmp13:
	.loc	2 293 36                        ; standard.py:293:36 @[ sum_aot.py:61:17 ]
	s_nop 0
	v_readlane_b32 s3, v4, 63
	v_mov_b32_e32 v4, v2
	s_nop 1
	v_mov_b32_dpp v4, v4 row_bcast:15 row_mask:0xa bank_mask:0xf bound_ctrl:1
.Ltmp14:
	.loc	2 263 15                        ; standard.py:263:15 @[ standard.py:293:36 @[ sum_aot.py:61:17 ] ]
	v_add_f32_e32 v2, v2, v4
	s_nop 1
	v_add_f32_dpp v2, v2, v2 row_bcast:31 row_mask:0xf bank_mask:0xf bound_ctrl:1
.Ltmp15:
	.loc	2 293 36                        ; standard.py:293:36 @[ sum_aot.py:61:17 ]
	s_nop 0
	v_readlane_b32 s8, v2, 63
.Ltmp16:
	.loc	2 263 15                        ; standard.py:263:15 @[ standard.py:293:36 @[ sum_aot.py:61:17 ] ]
	v_add_f32_dpp v2, v3, v3 row_shr:8 row_mask:0xf bank_mask:0xf bound_ctrl:1
	s_nop 1
	v_add_f32_dpp v2, v2, v2 row_shr:4 row_mask:0xf bank_mask:0xf bound_ctrl:1
	s_nop 1
	;; [unrolled: 2-line block ×3, first 2 shown]
	v_add_f32_dpp v2, v2, v2 row_shr:1 row_mask:0xf bank_mask:0xf bound_ctrl:1
.Ltmp17:
	.loc	2 293 36                        ; standard.py:293:36 @[ sum_aot.py:61:17 ]
	v_mov_b32_e32 v3, v2
	s_nop 1
	v_mov_b32_dpp v3, v3 row_bcast:15 row_mask:0xa bank_mask:0xf bound_ctrl:1
.Ltmp18:
	.loc	2 263 15                        ; standard.py:263:15 @[ standard.py:293:36 @[ sum_aot.py:61:17 ] ]
	v_add_f32_e32 v2, v2, v3
	s_nop 1
	v_add_f32_dpp v2, v2, v2 row_bcast:31 row_mask:0xf bank_mask:0xf bound_ctrl:1
.Ltmp19:
	.loc	2 293 36                        ; standard.py:293:36 @[ sum_aot.py:61:17 ]
	s_nop 0
	v_readlane_b32 s9, v2, 63
	s_and_saveexec_b64 s[0:1], vcc
	s_cbranch_execz .LBB0_38
; %bb.37:                               ; %.critedge
	.loc	2 0 36 is_stmt 0                ; standard.py:0:36
	s_lshr_b32 s10, s31, 4
	s_and_b32 s10, s10, 12
	s_add_i32 s10, s10, 0
	.loc	2 293 36                        ; standard.py:293:36 @[ sum_aot.py:61:17 ]
	v_mov_b32_e32 v1, s10
	v_mov_b32_e32 v2, s2
	;; [unrolled: 1-line block ×3, first 2 shown]
	ds_write2_b32 v1, v2, v3 offset1:4
	v_mov_b32_e32 v2, s8
	v_mov_b32_e32 v3, s9
	ds_write2_b32 v1, v2, v3 offset0:8 offset1:12
.LBB0_38:                               ; %.critedge4
	.loc	2 0 36                          ; standard.py:0:36
	s_or_b64 exec, exec, s[0:1]
	.loc	2 293 36                        ; standard.py:293:36 @[ sum_aot.py:61:17 ]
	v_cmp_gt_u32_e32 vcc, 16, v0
	v_lshl_add_u32 v2, v0, 2, 0
.Ltmp20:
	.loc	1 61 17 is_stmt 1               ; sum_aot.py:61:17
	v_mov_b32_e32 v3, 0
.Ltmp21:
	.loc	2 293 36                        ; standard.py:293:36 @[ sum_aot.py:61:17 ]
	s_waitcnt lgkmcnt(0)
	s_barrier
	s_and_saveexec_b64 s[0:1], vcc
; %bb.39:
	ds_read_b32 v3, v2
; %bb.40:
	.loc	2 0 36 is_stmt 0                ; standard.py:0:36
	s_or_b64 exec, exec, s[0:1]
	.loc	2 293 36                        ; standard.py:293:36 @[ sum_aot.py:61:17 ]
	s_waitcnt lgkmcnt(0)
	v_mov_b32_e32 v4, v3
.Ltmp22:
	.loc	1 48 61 is_stmt 1               ; sum_aot.py:48:61
	v_and_b32_e32 v1, 3, v0
.Ltmp23:
	.loc	2 293 36                        ; standard.py:293:36 @[ sum_aot.py:61:17 ]
	v_cmp_eq_u32_e64 s[0:1], 0, v1
	v_mov_b32_dpp v4, v4 quad_perm:[2,3,0,1] row_mask:0xf bank_mask:0xf
.Ltmp24:
	.loc	2 263 15                        ; standard.py:263:15 @[ standard.py:293:36 @[ sum_aot.py:61:17 ] ]
	v_add_f32_e32 v3, v3, v4
.Ltmp25:
	.loc	2 293 36                        ; standard.py:293:36 @[ sum_aot.py:61:17 ]
	v_mov_b32_e32 v4, v3
	s_and_b64 s[2:3], vcc, s[0:1]
	s_nop 0
	v_mov_b32_dpp v4, v4 quad_perm:[1,0,3,2] row_mask:0xf bank_mask:0xf
	s_and_saveexec_b64 s[0:1], s[2:3]
; %bb.41:
	.loc	2 0 36 is_stmt 0                ; standard.py:0:36
	v_add_f32_e32 v3, v3, v4
	.loc	2 293 36                        ; standard.py:293:36 @[ sum_aot.py:61:17 ]
	ds_write_b32 v2, v3
; %bb.42:
	.loc	2 0 36                          ; standard.py:0:36
	s_or_b64 exec, exec, s[0:1]
	.loc	2 293 36                        ; standard.py:293:36 @[ sum_aot.py:61:17 ]
	v_mov_b32_e32 v3, 0
	s_waitcnt lgkmcnt(0)
	s_barrier
	ds_read_b32 v4, v3
	ds_read_b32 v5, v3 offset:16
	ds_read_b32 v6, v3 offset:32
	;; [unrolled: 1-line block ×3, first 2 shown]
.Ltmp26:
	.loc	1 48 39 is_stmt 1               ; sum_aot.py:48:39
	v_or_b32_e32 v2, s30, v1
	.loc	1 62 23                         ; sum_aot.py:62:23
	v_and_or_b32 v0, v0, 60, s7
	.loc	1 51 21                         ; sum_aot.py:51:21
	v_cmp_gt_i32_e32 vcc, s6, v2
	.loc	1 62 23                         ; sum_aot.py:62:23
	v_cmp_eq_u32_e64 s[0:1], 0, v0
	s_and_b64 s[0:1], vcc, s[0:1]
	.loc	1 61 31                         ; sum_aot.py:61:31
	s_waitcnt lgkmcnt(0)
	s_barrier
	ds_write_b128 v3, v[4:7]
	s_waitcnt lgkmcnt(0)
	s_barrier
	.loc	1 62 23                         ; sum_aot.py:62:23
	s_and_saveexec_b64 s[2:3], s[0:1]
	s_cbranch_execz .LBB0_44
; %bb.43:
	.loc	1 0 23 is_stmt 0                ; sum_aot.py:0:23
	v_lshl_add_u32 v0, v1, 2, 0
	.loc	1 62 23                         ; sum_aot.py:62:23
	ds_read_b32 v4, v0
	.loc	1 50 16 is_stmt 1               ; sum_aot.py:50:16
	v_ashrrev_i32_e32 v3, 31, v2
	v_lshl_add_u64 v[0:1], v[2:3], 2, s[4:5]
	.loc	1 62 23                         ; sum_aot.py:62:23
	s_waitcnt lgkmcnt(0)
	global_store_dword v[0:1], v4, off
.LBB0_44:
	.loc	1 62 4 is_stmt 0                ; sum_aot.py:62:4
	s_endpgm
.Ltmp27:
	.section	.rodata,"a",@progbits
	.p2align	6, 0x0
	.amdhsa_kernel sum_dim_kernel
		.amdhsa_group_segment_fixed_size 0
		.amdhsa_private_segment_fixed_size 0
		.amdhsa_kernarg_size 40
		.amdhsa_user_sgpr_count 12
		.amdhsa_user_sgpr_dispatch_ptr 0
		.amdhsa_user_sgpr_queue_ptr 0
		.amdhsa_user_sgpr_kernarg_segment_ptr 1
		.amdhsa_user_sgpr_dispatch_id 0
		.amdhsa_user_sgpr_kernarg_preload_length 10
		.amdhsa_user_sgpr_kernarg_preload_offset 0
		.amdhsa_user_sgpr_private_segment_size 0
		.amdhsa_uses_dynamic_stack 0
		.amdhsa_enable_private_segment 0
		.amdhsa_system_sgpr_workgroup_id_x 1
		.amdhsa_system_sgpr_workgroup_id_y 0
		.amdhsa_system_sgpr_workgroup_id_z 0
		.amdhsa_system_sgpr_workgroup_info 0
		.amdhsa_system_vgpr_workitem_id 0
		.amdhsa_next_free_vgpr 39
		.amdhsa_next_free_sgpr 36
		.amdhsa_accum_offset 40
		.amdhsa_reserve_vcc 1
		.amdhsa_reserve_xnack_mask 1
		.amdhsa_float_round_mode_32 0
		.amdhsa_float_round_mode_16_64 0
		.amdhsa_float_denorm_mode_32 3
		.amdhsa_float_denorm_mode_16_64 3
		.amdhsa_dx10_clamp 1
		.amdhsa_ieee_mode 1
		.amdhsa_fp16_overflow 0
		.amdhsa_tg_split 0
		.amdhsa_exception_fp_ieee_invalid_op 0
		.amdhsa_exception_fp_denorm_src 0
		.amdhsa_exception_fp_ieee_div_zero 0
		.amdhsa_exception_fp_ieee_overflow 0
		.amdhsa_exception_fp_ieee_underflow 0
		.amdhsa_exception_fp_ieee_inexact 0
		.amdhsa_exception_int_div_zero 0
	.end_amdhsa_kernel
	.text
.Lfunc_end0:
	.size	sum_dim_kernel, .Lfunc_end0-sum_dim_kernel
	.cfi_endproc
                                        ; -- End function
	.set sum_dim_kernel.num_vgpr, 39
	.set sum_dim_kernel.num_agpr, 0
	.set sum_dim_kernel.numbered_sgpr, 36
	.set sum_dim_kernel.num_named_barrier, 0
	.set sum_dim_kernel.private_seg_size, 0
	.set sum_dim_kernel.uses_vcc, 1
	.set sum_dim_kernel.uses_flat_scratch, 0
	.set sum_dim_kernel.has_dyn_sized_stack, 0
	.set sum_dim_kernel.has_recursion, 0
	.set sum_dim_kernel.has_indirect_call, 0
	.section	.AMDGPU.csdata,"",@progbits
; Kernel info:
; codeLenInByte = 1840
; TotalNumSgprs: 42
; NumVgprs: 39
; NumAgprs: 0
; TotalNumVgprs: 39
; ScratchSize: 0
; MemoryBound: 0
; FloatMode: 240
; IeeeMode: 1
; LDSByteSize: 0 bytes/workgroup (compile time only)
; SGPRBlocks: 5
; VGPRBlocks: 4
; NumSGPRsForWavesPerEU: 42
; NumVGPRsForWavesPerEU: 39
; AccumOffset: 40
; Occupancy: 8
; WaveLimiterHint : 0
; COMPUTE_PGM_RSRC2:SCRATCH_EN: 0
; COMPUTE_PGM_RSRC2:USER_SGPR: 12
; COMPUTE_PGM_RSRC2:TRAP_HANDLER: 0
; COMPUTE_PGM_RSRC2:TGID_X_EN: 1
; COMPUTE_PGM_RSRC2:TGID_Y_EN: 0
; COMPUTE_PGM_RSRC2:TGID_Z_EN: 0
; COMPUTE_PGM_RSRC2:TIDIG_COMP_CNT: 0
; COMPUTE_PGM_RSRC3_GFX90A:ACCUM_OFFSET: 9
; COMPUTE_PGM_RSRC3_GFX90A:TG_SPLIT: 0
	.text
	.p2alignl 6, 3212836864
	.fill 256, 4, 3212836864
	.section	.AMDGPU.gpr_maximums,"",@progbits
	.set amdgpu.max_num_vgpr, 0
	.set amdgpu.max_num_agpr, 0
	.set amdgpu.max_num_sgpr, 0
	.set amdgpu.max_num_named_barrier, 0
	.text
	.section	.debug_abbrev,"",@progbits
	.byte	1                               ; Abbreviation Code
	.byte	17                              ; DW_TAG_compile_unit
	.byte	1                               ; DW_CHILDREN_yes
	.byte	37                              ; DW_AT_producer
	.byte	14                              ; DW_FORM_strp
	.byte	19                              ; DW_AT_language
	.byte	5                               ; DW_FORM_data2
	.byte	3                               ; DW_AT_name
	.byte	14                              ; DW_FORM_strp
	.byte	16                              ; DW_AT_stmt_list
	.byte	23                              ; DW_FORM_sec_offset
	.byte	27                              ; DW_AT_comp_dir
	.byte	14                              ; DW_FORM_strp
	.byte	17                              ; DW_AT_low_pc
	.byte	1                               ; DW_FORM_addr
	.byte	18                              ; DW_AT_high_pc
	.byte	6                               ; DW_FORM_data4
	.byte	0                               ; EOM(1)
	.byte	0                               ; EOM(2)
	.byte	2                               ; Abbreviation Code
	.byte	46                              ; DW_TAG_subprogram
	.byte	0                               ; DW_CHILDREN_no
	.byte	3                               ; DW_AT_name
	.byte	14                              ; DW_FORM_strp
	.byte	32                              ; DW_AT_inline
	.byte	11                              ; DW_FORM_data1
	.byte	0                               ; EOM(1)
	.byte	0                               ; EOM(2)
	.byte	3                               ; Abbreviation Code
	.byte	46                              ; DW_TAG_subprogram
	.byte	1                               ; DW_CHILDREN_yes
	.byte	17                              ; DW_AT_low_pc
	.byte	1                               ; DW_FORM_addr
	.byte	18                              ; DW_AT_high_pc
	.byte	6                               ; DW_FORM_data4
	.byte	49                              ; DW_AT_abstract_origin
	.byte	19                              ; DW_FORM_ref4
	.byte	0                               ; EOM(1)
	.byte	0                               ; EOM(2)
	.byte	4                               ; Abbreviation Code
	.byte	29                              ; DW_TAG_inlined_subroutine
	.byte	1                               ; DW_CHILDREN_yes
	.byte	49                              ; DW_AT_abstract_origin
	.byte	19                              ; DW_FORM_ref4
	.byte	85                              ; DW_AT_ranges
	.byte	23                              ; DW_FORM_sec_offset
	.byte	88                              ; DW_AT_call_file
	.byte	11                              ; DW_FORM_data1
	.byte	89                              ; DW_AT_call_line
	.byte	11                              ; DW_FORM_data1
	.byte	87                              ; DW_AT_call_column
	.byte	11                              ; DW_FORM_data1
	.byte	0                               ; EOM(1)
	.byte	0                               ; EOM(2)
	.byte	5                               ; Abbreviation Code
	.byte	29                              ; DW_TAG_inlined_subroutine
	.byte	0                               ; DW_CHILDREN_no
	.byte	49                              ; DW_AT_abstract_origin
	.byte	19                              ; DW_FORM_ref4
	.byte	85                              ; DW_AT_ranges
	.byte	23                              ; DW_FORM_sec_offset
	.byte	88                              ; DW_AT_call_file
	.byte	11                              ; DW_FORM_data1
	.byte	89                              ; DW_AT_call_line
	.byte	5                               ; DW_FORM_data2
	.byte	87                              ; DW_AT_call_column
	.byte	11                              ; DW_FORM_data1
	.byte	0                               ; EOM(1)
	.byte	0                               ; EOM(2)
	;; [unrolled: 1-line block ×3, first 2 shown]
	.section	.debug_info,"",@progbits
.Lcu_begin0:
	.long	.Ldebug_info_end0-.Ldebug_info_start0 ; Length of Unit
.Ldebug_info_start0:
	.short	4                               ; DWARF version number
	.long	.debug_abbrev                   ; Offset Into Abbrev. Section
	.byte	8                               ; Address Size (in bytes)
	.byte	1                               ; Abbrev [1] 0xb:0x52 DW_TAG_compile_unit
	.long	.Linfo_string0                  ; DW_AT_producer
	.short	2                               ; DW_AT_language
	.long	.Linfo_string1                  ; DW_AT_name
	.long	.Lline_table_start0             ; DW_AT_stmt_list
	.long	.Linfo_string2                  ; DW_AT_comp_dir
	.quad	.Lfunc_begin0                   ; DW_AT_low_pc
	.long	.Lfunc_end0-.Lfunc_begin0       ; DW_AT_high_pc
	.byte	2                               ; Abbrev [2] 0x2a:0x6 DW_TAG_subprogram
	.long	.Linfo_string3                  ; DW_AT_name
	.byte	1                               ; DW_AT_inline
	.byte	3                               ; Abbrev [3] 0x30:0x2c DW_TAG_subprogram
	.quad	.Lfunc_begin0                   ; DW_AT_low_pc
	.long	.Lfunc_end0-.Lfunc_begin0       ; DW_AT_high_pc
	.long	42                              ; DW_AT_abstract_origin
	.byte	4                               ; Abbrev [4] 0x41:0x1a DW_TAG_inlined_subroutine
	.long	42                              ; DW_AT_abstract_origin
	.long	.Ldebug_ranges0                 ; DW_AT_ranges
	.byte	1                               ; DW_AT_call_file
	.byte	61                              ; DW_AT_call_line
	.byte	17                              ; DW_AT_call_column
	.byte	5                               ; Abbrev [5] 0x4d:0xd DW_TAG_inlined_subroutine
	.long	42                              ; DW_AT_abstract_origin
	.long	.Ldebug_ranges1                 ; DW_AT_ranges
	.byte	2                               ; DW_AT_call_file
	.short	293                             ; DW_AT_call_line
	.byte	36                              ; DW_AT_call_column
	.byte	0                               ; End Of Children Mark
	.byte	0                               ; End Of Children Mark
	;; [unrolled: 1-line block ×3, first 2 shown]
.Ldebug_info_end0:
	.section	.debug_ranges,"",@progbits
.Ldebug_ranges0:
	.quad	.Ltmp2-.Lfunc_begin0
	.quad	.Ltmp20-.Lfunc_begin0
	.quad	.Ltmp21-.Lfunc_begin0
	.quad	.Ltmp22-.Lfunc_begin0
	.quad	.Ltmp23-.Lfunc_begin0
	.quad	.Ltmp26-.Lfunc_begin0
	.quad	0
	.quad	0
.Ldebug_ranges1:
	.quad	.Ltmp2-.Lfunc_begin0
	.quad	.Ltmp3-.Lfunc_begin0
	;; [unrolled: 1-line block ×20, first 2 shown]
	.quad	0
	.quad	0
	.section	.debug_str,"MS",@progbits,1
.Linfo_string0:
	.asciz	"triton"                        ; string offset=0
.Linfo_string1:
	.asciz	"sum_aot.py"                    ; string offset=7
.Linfo_string2:
	.asciz	"/root/src/amdgpu-assembly/repos/FlagOpen__FlagGems/triton_aot_kernels" ; string offset=18
.Linfo_string3:
	.asciz	"sum_dim_kernel"                ; string offset=88
	.section	".note.GNU-stack","",@progbits
	.amdgpu_metadata
---
amdhsa.kernels:
  - .agpr_count:     0
    .args:
      - .address_space:  global
        .offset:         0
        .size:           8
        .value_kind:     global_buffer
      - .address_space:  global
        .offset:         8
        .size:           8
        .value_kind:     global_buffer
      - .offset:         16
        .size:           4
        .value_kind:     by_value
      - .offset:         20
        .size:           4
        .value_kind:     by_value
      - .address_space:  global
        .offset:         24
        .size:           8
        .value_kind:     global_buffer
      - .address_space:  global
        .offset:         32
        .size:           8
        .value_kind:     global_buffer
    .group_segment_fixed_size: 0
    .kernarg_segment_align: 8
    .kernarg_segment_size: 40
    .max_flat_workgroup_size: 256
    .name:           sum_dim_kernel
    .private_segment_fixed_size: 0
    .sgpr_count:     42
    .sgpr_spill_count: 0
    .symbol:         sum_dim_kernel.kd
    .uniform_work_group_size: 1
    .uses_dynamic_stack: false
    .vgpr_count:     39
    .vgpr_spill_count: 0
    .wavefront_size: 64
amdhsa.target:   amdgcn-amd-amdhsa--gfx950
amdhsa.version:
  - 1
  - 2
...

	.end_amdgpu_metadata
	.section	.debug_line,"",@progbits
.Lline_table_start0:
